;; amdgpu-corpus repo=ROCm/rocFFT kind=compiled arch=gfx906 opt=O3
	.text
	.amdgcn_target "amdgcn-amd-amdhsa--gfx906"
	.amdhsa_code_object_version 6
	.protected	fft_rtc_back_len1470_factors_2_3_5_7_7_wgs_210_tpt_210_halfLds_dp_op_CI_CI_unitstride_sbrr_C2R_dirReg ; -- Begin function fft_rtc_back_len1470_factors_2_3_5_7_7_wgs_210_tpt_210_halfLds_dp_op_CI_CI_unitstride_sbrr_C2R_dirReg
	.globl	fft_rtc_back_len1470_factors_2_3_5_7_7_wgs_210_tpt_210_halfLds_dp_op_CI_CI_unitstride_sbrr_C2R_dirReg
	.p2align	8
	.type	fft_rtc_back_len1470_factors_2_3_5_7_7_wgs_210_tpt_210_halfLds_dp_op_CI_CI_unitstride_sbrr_C2R_dirReg,@function
fft_rtc_back_len1470_factors_2_3_5_7_7_wgs_210_tpt_210_halfLds_dp_op_CI_CI_unitstride_sbrr_C2R_dirReg: ; @fft_rtc_back_len1470_factors_2_3_5_7_7_wgs_210_tpt_210_halfLds_dp_op_CI_CI_unitstride_sbrr_C2R_dirReg
; %bb.0:
	s_load_dwordx4 s[8:11], s[4:5], 0x58
	s_load_dwordx4 s[12:15], s[4:5], 0x0
	;; [unrolled: 1-line block ×3, first 2 shown]
	v_mul_u32_u24_e32 v1, 0x139, v0
	v_add_u32_sdwa v5, s6, v1 dst_sel:DWORD dst_unused:UNUSED_PAD src0_sel:DWORD src1_sel:WORD_1
	v_mov_b32_e32 v3, 0
	s_waitcnt lgkmcnt(0)
	v_cmp_lt_u64_e64 s[0:1], s[14:15], 2
	v_mov_b32_e32 v1, 0
	v_mov_b32_e32 v6, v3
	s_and_b64 vcc, exec, s[0:1]
	v_mov_b32_e32 v2, 0
	s_cbranch_vccnz .LBB0_8
; %bb.1:
	s_load_dwordx2 s[0:1], s[4:5], 0x10
	s_add_u32 s2, s18, 8
	s_addc_u32 s3, s19, 0
	s_add_u32 s6, s16, 8
	v_mov_b32_e32 v1, 0
	s_addc_u32 s7, s17, 0
	v_mov_b32_e32 v2, 0
	s_waitcnt lgkmcnt(0)
	s_add_u32 s20, s0, 8
	v_mov_b32_e32 v41, v2
	s_addc_u32 s21, s1, 0
	s_mov_b64 s[22:23], 1
	v_mov_b32_e32 v40, v1
.LBB0_2:                                ; =>This Inner Loop Header: Depth=1
	s_load_dwordx2 s[24:25], s[20:21], 0x0
                                        ; implicit-def: $vgpr42_vgpr43
	s_waitcnt lgkmcnt(0)
	v_or_b32_e32 v4, s25, v6
	v_cmp_ne_u64_e32 vcc, 0, v[3:4]
	s_and_saveexec_b64 s[0:1], vcc
	s_xor_b64 s[26:27], exec, s[0:1]
	s_cbranch_execz .LBB0_4
; %bb.3:                                ;   in Loop: Header=BB0_2 Depth=1
	v_cvt_f32_u32_e32 v4, s24
	v_cvt_f32_u32_e32 v7, s25
	s_sub_u32 s0, 0, s24
	s_subb_u32 s1, 0, s25
	v_mac_f32_e32 v4, 0x4f800000, v7
	v_rcp_f32_e32 v4, v4
	v_mul_f32_e32 v4, 0x5f7ffffc, v4
	v_mul_f32_e32 v7, 0x2f800000, v4
	v_trunc_f32_e32 v7, v7
	v_mac_f32_e32 v4, 0xcf800000, v7
	v_cvt_u32_f32_e32 v7, v7
	v_cvt_u32_f32_e32 v4, v4
	v_mul_lo_u32 v8, s0, v7
	v_mul_hi_u32 v9, s0, v4
	v_mul_lo_u32 v11, s1, v4
	v_mul_lo_u32 v10, s0, v4
	v_add_u32_e32 v8, v9, v8
	v_add_u32_e32 v8, v8, v11
	v_mul_hi_u32 v9, v4, v10
	v_mul_lo_u32 v11, v4, v8
	v_mul_hi_u32 v13, v4, v8
	v_mul_hi_u32 v12, v7, v10
	v_mul_lo_u32 v10, v7, v10
	v_mul_hi_u32 v14, v7, v8
	v_add_co_u32_e32 v9, vcc, v9, v11
	v_addc_co_u32_e32 v11, vcc, 0, v13, vcc
	v_mul_lo_u32 v8, v7, v8
	v_add_co_u32_e32 v9, vcc, v9, v10
	v_addc_co_u32_e32 v9, vcc, v11, v12, vcc
	v_addc_co_u32_e32 v10, vcc, 0, v14, vcc
	v_add_co_u32_e32 v8, vcc, v9, v8
	v_addc_co_u32_e32 v9, vcc, 0, v10, vcc
	v_add_co_u32_e32 v4, vcc, v4, v8
	v_addc_co_u32_e32 v7, vcc, v7, v9, vcc
	v_mul_lo_u32 v8, s0, v7
	v_mul_hi_u32 v9, s0, v4
	v_mul_lo_u32 v10, s1, v4
	v_mul_lo_u32 v11, s0, v4
	v_add_u32_e32 v8, v9, v8
	v_add_u32_e32 v8, v8, v10
	v_mul_lo_u32 v12, v4, v8
	v_mul_hi_u32 v13, v4, v11
	v_mul_hi_u32 v14, v4, v8
	v_mul_hi_u32 v10, v7, v11
	v_mul_lo_u32 v11, v7, v11
	v_mul_hi_u32 v9, v7, v8
	v_add_co_u32_e32 v12, vcc, v13, v12
	v_addc_co_u32_e32 v13, vcc, 0, v14, vcc
	v_mul_lo_u32 v8, v7, v8
	v_add_co_u32_e32 v11, vcc, v12, v11
	v_addc_co_u32_e32 v10, vcc, v13, v10, vcc
	v_addc_co_u32_e32 v9, vcc, 0, v9, vcc
	v_add_co_u32_e32 v8, vcc, v10, v8
	v_addc_co_u32_e32 v9, vcc, 0, v9, vcc
	v_add_co_u32_e32 v4, vcc, v4, v8
	v_addc_co_u32_e32 v9, vcc, v7, v9, vcc
	v_mad_u64_u32 v[7:8], s[0:1], v5, v9, 0
	v_mul_hi_u32 v10, v5, v4
	v_add_co_u32_e32 v11, vcc, v10, v7
	v_addc_co_u32_e32 v12, vcc, 0, v8, vcc
	v_mad_u64_u32 v[7:8], s[0:1], v6, v4, 0
	v_mad_u64_u32 v[9:10], s[0:1], v6, v9, 0
	v_add_co_u32_e32 v4, vcc, v11, v7
	v_addc_co_u32_e32 v4, vcc, v12, v8, vcc
	v_addc_co_u32_e32 v7, vcc, 0, v10, vcc
	v_add_co_u32_e32 v4, vcc, v4, v9
	v_addc_co_u32_e32 v9, vcc, 0, v7, vcc
	v_mul_lo_u32 v10, s25, v4
	v_mul_lo_u32 v11, s24, v9
	v_mad_u64_u32 v[7:8], s[0:1], s24, v4, 0
	v_add3_u32 v8, v8, v11, v10
	v_sub_u32_e32 v10, v6, v8
	v_mov_b32_e32 v11, s25
	v_sub_co_u32_e32 v7, vcc, v5, v7
	v_subb_co_u32_e64 v10, s[0:1], v10, v11, vcc
	v_subrev_co_u32_e64 v11, s[0:1], s24, v7
	v_subbrev_co_u32_e64 v10, s[0:1], 0, v10, s[0:1]
	v_cmp_le_u32_e64 s[0:1], s25, v10
	v_cndmask_b32_e64 v12, 0, -1, s[0:1]
	v_cmp_le_u32_e64 s[0:1], s24, v11
	v_cndmask_b32_e64 v11, 0, -1, s[0:1]
	v_cmp_eq_u32_e64 s[0:1], s25, v10
	v_cndmask_b32_e64 v10, v12, v11, s[0:1]
	v_add_co_u32_e64 v11, s[0:1], 2, v4
	v_addc_co_u32_e64 v12, s[0:1], 0, v9, s[0:1]
	v_add_co_u32_e64 v13, s[0:1], 1, v4
	v_addc_co_u32_e64 v14, s[0:1], 0, v9, s[0:1]
	v_subb_co_u32_e32 v8, vcc, v6, v8, vcc
	v_cmp_ne_u32_e64 s[0:1], 0, v10
	v_cmp_le_u32_e32 vcc, s25, v8
	v_cndmask_b32_e64 v10, v14, v12, s[0:1]
	v_cndmask_b32_e64 v12, 0, -1, vcc
	v_cmp_le_u32_e32 vcc, s24, v7
	v_cndmask_b32_e64 v7, 0, -1, vcc
	v_cmp_eq_u32_e32 vcc, s25, v8
	v_cndmask_b32_e32 v7, v12, v7, vcc
	v_cmp_ne_u32_e32 vcc, 0, v7
	v_cndmask_b32_e64 v7, v13, v11, s[0:1]
	v_cndmask_b32_e32 v43, v9, v10, vcc
	v_cndmask_b32_e32 v42, v4, v7, vcc
.LBB0_4:                                ;   in Loop: Header=BB0_2 Depth=1
	s_andn2_saveexec_b64 s[0:1], s[26:27]
	s_cbranch_execz .LBB0_6
; %bb.5:                                ;   in Loop: Header=BB0_2 Depth=1
	v_cvt_f32_u32_e32 v4, s24
	s_sub_i32 s26, 0, s24
	v_mov_b32_e32 v43, v3
	v_rcp_iflag_f32_e32 v4, v4
	v_mul_f32_e32 v4, 0x4f7ffffe, v4
	v_cvt_u32_f32_e32 v4, v4
	v_mul_lo_u32 v7, s26, v4
	v_mul_hi_u32 v7, v4, v7
	v_add_u32_e32 v4, v4, v7
	v_mul_hi_u32 v4, v5, v4
	v_mul_lo_u32 v7, v4, s24
	v_add_u32_e32 v8, 1, v4
	v_sub_u32_e32 v7, v5, v7
	v_subrev_u32_e32 v9, s24, v7
	v_cmp_le_u32_e32 vcc, s24, v7
	v_cndmask_b32_e32 v7, v7, v9, vcc
	v_cndmask_b32_e32 v4, v4, v8, vcc
	v_add_u32_e32 v8, 1, v4
	v_cmp_le_u32_e32 vcc, s24, v7
	v_cndmask_b32_e32 v42, v4, v8, vcc
.LBB0_6:                                ;   in Loop: Header=BB0_2 Depth=1
	s_or_b64 exec, exec, s[0:1]
	v_mul_lo_u32 v4, v43, s24
	v_mul_lo_u32 v9, v42, s25
	v_mad_u64_u32 v[7:8], s[0:1], v42, s24, 0
	s_load_dwordx2 s[0:1], s[6:7], 0x0
	s_load_dwordx2 s[24:25], s[2:3], 0x0
	v_add3_u32 v4, v8, v9, v4
	v_sub_co_u32_e32 v5, vcc, v5, v7
	v_subb_co_u32_e32 v4, vcc, v6, v4, vcc
	s_waitcnt lgkmcnt(0)
	v_mul_lo_u32 v6, s0, v4
	v_mul_lo_u32 v7, s1, v5
	v_mad_u64_u32 v[1:2], s[0:1], s0, v5, v[1:2]
	v_mul_lo_u32 v4, s24, v4
	v_mul_lo_u32 v8, s25, v5
	v_mad_u64_u32 v[40:41], s[0:1], s24, v5, v[40:41]
	s_add_u32 s22, s22, 1
	s_addc_u32 s23, s23, 0
	s_add_u32 s2, s2, 8
	v_add3_u32 v41, v8, v41, v4
	s_addc_u32 s3, s3, 0
	v_mov_b32_e32 v4, s14
	s_add_u32 s6, s6, 8
	v_mov_b32_e32 v5, s15
	s_addc_u32 s7, s7, 0
	v_cmp_ge_u64_e32 vcc, s[22:23], v[4:5]
	s_add_u32 s20, s20, 8
	v_add3_u32 v2, v7, v2, v6
	s_addc_u32 s21, s21, 0
	s_cbranch_vccnz .LBB0_9
; %bb.7:                                ;   in Loop: Header=BB0_2 Depth=1
	v_mov_b32_e32 v5, v42
	v_mov_b32_e32 v6, v43
	s_branch .LBB0_2
.LBB0_8:
	v_mov_b32_e32 v41, v2
	v_mov_b32_e32 v43, v6
	;; [unrolled: 1-line block ×4, first 2 shown]
.LBB0_9:
	s_load_dwordx2 s[2:3], s[4:5], 0x28
	s_lshl_b64 s[6:7], s[14:15], 3
	s_add_u32 s4, s18, s6
	s_addc_u32 s5, s19, s7
                                        ; implicit-def: $vgpr44
	s_waitcnt lgkmcnt(0)
	v_cmp_gt_u64_e64 s[0:1], s[2:3], v[42:43]
	v_cmp_le_u64_e32 vcc, s[2:3], v[42:43]
	s_and_saveexec_b64 s[2:3], vcc
	s_xor_b64 s[2:3], exec, s[2:3]
; %bb.10:
	s_mov_b32 s14, 0x1381382
	v_mul_hi_u32 v1, v0, s14
	v_mul_u32_u24_e32 v1, 0xd2, v1
	v_sub_u32_e32 v44, v0, v1
                                        ; implicit-def: $vgpr0
                                        ; implicit-def: $vgpr1_vgpr2
; %bb.11:
	s_or_saveexec_b64 s[2:3], s[2:3]
	s_load_dwordx2 s[4:5], s[4:5], 0x0
	s_xor_b64 exec, exec, s[2:3]
	s_cbranch_execz .LBB0_15
; %bb.12:
	s_add_u32 s6, s16, s6
	s_addc_u32 s7, s17, s7
	s_load_dwordx2 s[6:7], s[6:7], 0x0
	s_mov_b32 s14, 0x1381382
	v_mul_hi_u32 v5, v0, s14
	v_lshlrev_b64 v[1:2], 4, v[1:2]
	s_waitcnt lgkmcnt(0)
	v_mul_lo_u32 v6, s7, v42
	v_mul_lo_u32 v7, s6, v43
	v_mad_u64_u32 v[3:4], s[6:7], s6, v42, 0
	v_mul_u32_u24_e32 v5, 0xd2, v5
	v_sub_u32_e32 v44, v0, v5
	v_add3_u32 v4, v4, v7, v6
	v_lshlrev_b64 v[3:4], 4, v[3:4]
	v_mov_b32_e32 v0, s9
	v_add_co_u32_e32 v3, vcc, s8, v3
	v_addc_co_u32_e32 v0, vcc, v0, v4, vcc
	v_add_co_u32_e32 v1, vcc, v3, v1
	v_addc_co_u32_e32 v0, vcc, v0, v2, vcc
	v_lshlrev_b32_e32 v38, 4, v44
	v_add_co_u32_e32 v10, vcc, v1, v38
	v_addc_co_u32_e32 v11, vcc, 0, v0, vcc
	s_movk_i32 s6, 0x1000
	v_add_co_u32_e32 v30, vcc, s6, v10
	s_movk_i32 s7, 0x2000
	v_addc_co_u32_e32 v31, vcc, 0, v11, vcc
	v_add_co_u32_e32 v32, vcc, s7, v10
	s_movk_i32 s8, 0x3000
	v_addc_co_u32_e32 v33, vcc, 0, v11, vcc
	v_add_co_u32_e32 v34, vcc, s8, v10
	v_addc_co_u32_e32 v35, vcc, 0, v11, vcc
	v_add_co_u32_e32 v36, vcc, 0x4000, v10
	global_load_dwordx4 v[2:5], v[10:11], off
	global_load_dwordx4 v[6:9], v[10:11], off offset:3360
	v_addc_co_u32_e32 v37, vcc, 0, v11, vcc
	global_load_dwordx4 v[10:13], v[30:31], off offset:2624
	global_load_dwordx4 v[14:17], v[32:33], off offset:1888
	;; [unrolled: 1-line block ×5, first 2 shown]
	s_movk_i32 s6, 0xd1
	v_add_u32_e32 v30, 0, v38
	v_cmp_eq_u32_e32 vcc, s6, v44
	s_waitcnt vmcnt(6)
	ds_write_b128 v30, v[2:5]
	s_waitcnt vmcnt(5)
	ds_write_b128 v30, v[6:9] offset:3360
	s_waitcnt vmcnt(4)
	ds_write_b128 v30, v[10:13] offset:6720
	;; [unrolled: 2-line block ×6, first 2 shown]
	s_and_saveexec_b64 s[6:7], vcc
	s_cbranch_execz .LBB0_14
; %bb.13:
	v_add_co_u32_e32 v1, vcc, 0x5000, v1
	v_addc_co_u32_e32 v2, vcc, 0, v0, vcc
	global_load_dwordx4 v[0:3], v[1:2], off offset:3040
	v_mov_b32_e32 v4, 0
	v_mov_b32_e32 v44, 0xd1
	s_waitcnt vmcnt(0)
	ds_write_b128 v4, v[0:3] offset:23520
.LBB0_14:
	s_or_b64 exec, exec, s[6:7]
.LBB0_15:
	s_or_b64 exec, exec, s[2:3]
	v_lshlrev_b32_e32 v0, 4, v44
	v_add_u32_e32 v46, 0, v0
	s_waitcnt lgkmcnt(0)
	s_barrier
	v_sub_u32_e32 v10, 0, v0
	ds_read_b64 v[6:7], v46
	ds_read_b64 v[8:9], v10 offset:23520
	s_add_u32 s6, s12, 0x5bc0
	s_addc_u32 s7, s13, 0
	v_cmp_ne_u32_e32 vcc, 0, v44
                                        ; implicit-def: $vgpr4_vgpr5
	s_waitcnt lgkmcnt(0)
	v_add_f64 v[0:1], v[6:7], v[8:9]
	v_add_f64 v[2:3], v[6:7], -v[8:9]
	s_and_saveexec_b64 s[2:3], vcc
	s_xor_b64 s[2:3], exec, s[2:3]
	s_cbranch_execz .LBB0_17
; %bb.16:
	v_mov_b32_e32 v45, 0
	v_lshlrev_b64 v[0:1], 4, v[44:45]
	v_mov_b32_e32 v2, s7
	v_add_co_u32_e32 v0, vcc, s6, v0
	v_addc_co_u32_e32 v1, vcc, v2, v1, vcc
	global_load_dwordx4 v[2:5], v[0:1], off
	ds_read_b64 v[0:1], v10 offset:23528
	ds_read_b64 v[11:12], v46 offset:8
	v_add_f64 v[13:14], v[6:7], v[8:9]
	v_add_f64 v[8:9], v[6:7], -v[8:9]
	s_waitcnt lgkmcnt(0)
	v_add_f64 v[15:16], v[0:1], v[11:12]
	v_add_f64 v[0:1], v[11:12], -v[0:1]
	s_waitcnt vmcnt(0)
	v_fma_f64 v[6:7], -v[8:9], v[4:5], v[13:14]
	v_fma_f64 v[11:12], v[15:16], v[4:5], -v[0:1]
	v_fma_f64 v[13:14], v[8:9], v[4:5], v[13:14]
	v_fma_f64 v[17:18], v[15:16], v[4:5], v[0:1]
	;; [unrolled: 1-line block ×4, first 2 shown]
	v_fma_f64 v[0:1], -v[15:16], v[2:3], v[13:14]
	v_fma_f64 v[2:3], v[8:9], v[2:3], v[17:18]
	ds_write_b128 v10, v[4:7] offset:23520
	v_mov_b32_e32 v4, v44
	v_mov_b32_e32 v5, v45
.LBB0_17:
	s_andn2_saveexec_b64 s[2:3], s[2:3]
	s_cbranch_execz .LBB0_19
; %bb.18:
	v_mov_b32_e32 v8, 0
	ds_read_b128 v[4:7], v8 offset:11760
	s_waitcnt lgkmcnt(0)
	v_add_f64 v[11:12], v[4:5], v[4:5]
	v_mul_f64 v[13:14], v[6:7], -2.0
	v_mov_b32_e32 v4, 0
	v_mov_b32_e32 v5, 0
	ds_write_b128 v8, v[11:14] offset:11760
.LBB0_19:
	s_or_b64 exec, exec, s[2:3]
	v_lshlrev_b64 v[4:5], 4, v[4:5]
	v_mov_b32_e32 v6, s7
	v_add_co_u32_e32 v4, vcc, s6, v4
	v_addc_co_u32_e32 v5, vcc, v6, v5, vcc
	global_load_dwordx4 v[6:9], v[4:5], off offset:3360
	s_movk_i32 s2, 0x1000
	v_add_co_u32_e32 v11, vcc, s2, v4
	v_addc_co_u32_e32 v12, vcc, 0, v5, vcc
	global_load_dwordx4 v[11:14], v[11:12], off offset:2624
	ds_write_b128 v46, v[0:3]
	ds_read_b128 v[0:3], v46 offset:3360
	ds_read_b128 v[15:18], v10 offset:20160
	s_movk_i32 s2, 0x69
	v_cmp_gt_u32_e32 vcc, s2, v44
	s_waitcnt lgkmcnt(0)
	v_add_f64 v[19:20], v[0:1], v[15:16]
	v_add_f64 v[21:22], v[17:18], v[2:3]
	v_add_f64 v[23:24], v[0:1], -v[15:16]
	v_add_f64 v[0:1], v[2:3], -v[17:18]
	s_waitcnt vmcnt(1)
	v_fma_f64 v[2:3], v[23:24], v[8:9], v[19:20]
	v_fma_f64 v[15:16], v[21:22], v[8:9], v[0:1]
	v_fma_f64 v[17:18], -v[23:24], v[8:9], v[19:20]
	v_fma_f64 v[8:9], v[21:22], v[8:9], -v[0:1]
	v_fma_f64 v[0:1], -v[21:22], v[6:7], v[2:3]
	v_fma_f64 v[2:3], v[23:24], v[6:7], v[15:16]
	v_fma_f64 v[15:16], v[21:22], v[6:7], v[17:18]
	;; [unrolled: 1-line block ×3, first 2 shown]
	ds_write_b128 v46, v[0:3] offset:3360
	ds_write_b128 v10, v[15:18] offset:20160
	ds_read_b128 v[0:3], v46 offset:6720
	ds_read_b128 v[6:9], v10 offset:16800
	s_waitcnt lgkmcnt(0)
	v_add_f64 v[15:16], v[0:1], v[6:7]
	v_add_f64 v[17:18], v[8:9], v[2:3]
	v_add_f64 v[19:20], v[0:1], -v[6:7]
	v_add_f64 v[0:1], v[2:3], -v[8:9]
	s_waitcnt vmcnt(0)
	v_fma_f64 v[2:3], v[19:20], v[13:14], v[15:16]
	v_fma_f64 v[6:7], v[17:18], v[13:14], v[0:1]
	v_fma_f64 v[8:9], -v[19:20], v[13:14], v[15:16]
	v_fma_f64 v[13:14], v[17:18], v[13:14], -v[0:1]
	v_fma_f64 v[0:1], -v[17:18], v[11:12], v[2:3]
	v_fma_f64 v[2:3], v[19:20], v[11:12], v[6:7]
	v_fma_f64 v[6:7], v[17:18], v[11:12], v[8:9]
	;; [unrolled: 1-line block ×3, first 2 shown]
	ds_write_b128 v46, v[0:3] offset:6720
	ds_write_b128 v10, v[6:9] offset:16800
	s_and_saveexec_b64 s[6:7], vcc
	s_cbranch_execz .LBB0_21
; %bb.20:
	s_movk_i32 s2, 0x2000
	v_add_co_u32_e64 v0, s[2:3], s2, v4
	v_addc_co_u32_e64 v1, s[2:3], 0, v5, s[2:3]
	global_load_dwordx4 v[0:3], v[0:1], off offset:1888
	ds_read_b128 v[4:7], v46 offset:10080
	ds_read_b128 v[11:14], v10 offset:13440
	s_waitcnt lgkmcnt(0)
	v_add_f64 v[8:9], v[4:5], v[11:12]
	v_add_f64 v[15:16], v[13:14], v[6:7]
	v_add_f64 v[11:12], v[4:5], -v[11:12]
	v_add_f64 v[4:5], v[6:7], -v[13:14]
	s_waitcnt vmcnt(0)
	v_fma_f64 v[6:7], v[11:12], v[2:3], v[8:9]
	v_fma_f64 v[13:14], v[15:16], v[2:3], v[4:5]
	v_fma_f64 v[8:9], -v[11:12], v[2:3], v[8:9]
	v_fma_f64 v[17:18], v[15:16], v[2:3], -v[4:5]
	v_fma_f64 v[2:3], -v[15:16], v[0:1], v[6:7]
	v_fma_f64 v[4:5], v[11:12], v[0:1], v[13:14]
	v_fma_f64 v[6:7], v[15:16], v[0:1], v[8:9]
	v_fma_f64 v[8:9], v[11:12], v[0:1], v[17:18]
	ds_write_b128 v46, v[2:5] offset:10080
	ds_write_b128 v10, v[6:9] offset:13440
.LBB0_21:
	s_or_b64 exec, exec, s[6:7]
	s_waitcnt lgkmcnt(0)
	s_barrier
	s_barrier
	ds_read_b128 v[0:3], v46 offset:11760
	ds_read_b128 v[4:7], v46
	ds_read_b128 v[8:11], v46 offset:3360
	ds_read_b128 v[12:15], v46 offset:15120
	v_lshl_add_u32 v36, v44, 4, v46
	v_add_u32_e32 v45, 0xd2, v44
	s_waitcnt lgkmcnt(2)
	v_add_f64 v[0:1], v[4:5], -v[0:1]
	v_add_f64 v[2:3], v[6:7], -v[2:3]
	s_waitcnt lgkmcnt(0)
	v_add_f64 v[12:13], v[8:9], -v[12:13]
	v_add_f64 v[14:15], v[10:11], -v[14:15]
	v_fma_f64 v[16:17], v[4:5], 2.0, -v[0:1]
	v_fma_f64 v[18:19], v[6:7], 2.0, -v[2:3]
	ds_read_b128 v[20:23], v46 offset:6720
	ds_read_b128 v[24:27], v46 offset:10080
	;; [unrolled: 1-line block ×4, first 2 shown]
	v_fma_f64 v[8:9], v[8:9], 2.0, -v[12:13]
	v_fma_f64 v[10:11], v[10:11], 2.0, -v[14:15]
	s_waitcnt lgkmcnt(0)
	v_add_f64 v[32:33], v[20:21], -v[4:5]
	v_add_f64 v[34:35], v[22:23], -v[6:7]
	;; [unrolled: 1-line block ×4, first 2 shown]
	s_barrier
	ds_write_b128 v36, v[16:19]
	ds_write_b128 v36, v[0:3] offset:16
	v_fma_f64 v[16:17], v[20:21], 2.0, -v[32:33]
	v_fma_f64 v[18:19], v[22:23], 2.0, -v[34:35]
	;; [unrolled: 1-line block ×4, first 2 shown]
	v_lshl_add_u32 v20, v45, 5, 0
	v_add_u32_e32 v36, 0x1a4, v44
	ds_write_b128 v20, v[8:11]
	v_lshl_add_u32 v8, v36, 5, 0
	ds_write_b128 v20, v[12:15] offset:16
	ds_write_b128 v8, v[16:19]
	ds_write_b128 v8, v[32:35] offset:16
	s_and_saveexec_b64 s[2:3], vcc
	s_cbranch_execz .LBB0_23
; %bb.22:
	v_lshl_add_u32 v8, v44, 5, 0
	ds_write_b128 v8, v[0:3] offset:20160
	ds_write_b128 v8, v[4:7] offset:20176
.LBB0_23:
	s_or_b64 exec, exec, s[2:3]
	s_waitcnt lgkmcnt(0)
	s_barrier
	ds_read_b128 v[8:11], v46
	ds_read_b128 v[12:15], v46 offset:3360
	ds_read_b128 v[28:31], v46 offset:7840
	;; [unrolled: 1-line block ×5, first 2 shown]
	s_movk_i32 s2, 0x46
	v_cmp_gt_u32_e32 vcc, s2, v44
                                        ; implicit-def: $vgpr34_vgpr35
	s_and_saveexec_b64 s[2:3], vcc
	s_cbranch_execz .LBB0_25
; %bb.24:
	ds_read_b128 v[0:3], v46 offset:6720
	ds_read_b128 v[4:7], v46 offset:14560
	;; [unrolled: 1-line block ×3, first 2 shown]
.LBB0_25:
	s_or_b64 exec, exec, s[2:3]
	v_and_b32_e32 v37, 1, v44
	v_lshlrev_b32_e32 v38, 5, v37
	global_load_dwordx4 v[47:50], v38, s[12:13]
	global_load_dwordx4 v[51:54], v38, s[12:13] offset:16
	v_lshrrev_b32_e32 v38, 1, v44
	v_lshrrev_b32_e32 v39, 1, v45
	v_mul_u32_u24_e32 v38, 6, v38
	v_mul_u32_u24_e32 v39, 6, v39
	v_or_b32_e32 v38, v38, v37
	v_or_b32_e32 v73, v39, v37
	v_lshl_add_u32 v74, v38, 4, 0
	s_mov_b32 s2, 0xe8584caa
	s_mov_b32 s3, 0xbfebb67a
	;; [unrolled: 1-line block ×4, first 2 shown]
	s_waitcnt vmcnt(0) lgkmcnt(0)
	s_barrier
	v_mul_f64 v[38:39], v[30:31], v[49:50]
	v_mul_f64 v[55:56], v[28:29], v[49:50]
	;; [unrolled: 1-line block ×12, first 2 shown]
	v_fma_f64 v[28:29], v[28:29], v[47:48], v[38:39]
	v_fma_f64 v[30:31], v[30:31], v[47:48], -v[55:56]
	v_fma_f64 v[24:25], v[24:25], v[47:48], v[57:58]
	v_fma_f64 v[26:27], v[26:27], v[47:48], -v[59:60]
	;; [unrolled: 2-line block ×6, first 2 shown]
	v_add_f64 v[16:17], v[28:29], v[20:21]
	v_add_f64 v[18:19], v[30:31], v[22:23]
	;; [unrolled: 1-line block ×8, first 2 shown]
	v_add_f64 v[65:66], v[24:25], -v[38:39]
	v_add_f64 v[24:25], v[6:7], v[34:35]
	v_add_f64 v[69:70], v[4:5], v[32:33]
	v_add_f64 v[30:31], v[30:31], -v[22:23]
	v_add_f64 v[61:62], v[28:29], -v[20:21]
	;; [unrolled: 1-line block ×3, first 2 shown]
	v_add_f64 v[26:27], v[2:3], v[6:7]
	v_add_f64 v[67:68], v[6:7], -v[34:35]
	v_add_f64 v[28:29], v[0:1], v[4:5]
	v_add_f64 v[71:72], v[4:5], -v[32:33]
	v_fma_f64 v[8:9], v[16:17], -0.5, v[8:9]
	v_fma_f64 v[10:11], v[18:19], -0.5, v[10:11]
	;; [unrolled: 1-line block ×4, first 2 shown]
	v_add_f64 v[18:19], v[51:52], v[22:23]
	v_add_f64 v[16:17], v[49:50], v[20:21]
	;; [unrolled: 1-line block ×4, first 2 shown]
	v_fma_f64 v[38:39], v[69:70], -0.5, v[0:1]
	v_fma_f64 v[47:48], v[24:25], -0.5, v[2:3]
	v_add_f64 v[6:7], v[26:27], v[34:35]
	v_add_f64 v[4:5], v[28:29], v[32:33]
	v_fma_f64 v[24:25], v[30:31], s[2:3], v[8:9]
	v_fma_f64 v[28:29], v[30:31], s[6:7], v[8:9]
	;; [unrolled: 1-line block ×12, first 2 shown]
	v_lshl_add_u32 v38, v73, 4, 0
	ds_write_b128 v74, v[16:19]
	ds_write_b128 v74, v[24:27] offset:32
	ds_write_b128 v74, v[28:31] offset:64
	ds_write_b128 v38, v[20:23]
	ds_write_b128 v38, v[32:35] offset:32
	ds_write_b128 v38, v[0:3] offset:64
	s_and_saveexec_b64 s[2:3], vcc
	s_cbranch_execz .LBB0_27
; %bb.26:
	v_lshrrev_b32_e32 v16, 1, v36
	v_mul_u32_u24_e32 v16, 6, v16
	v_or_b32_e32 v16, v16, v37
	v_lshl_add_u32 v16, v16, 4, 0
	ds_write_b128 v16, v[4:7]
	ds_write_b128 v16, v[8:11] offset:32
	ds_write_b128 v16, v[12:15] offset:64
.LBB0_27:
	s_or_b64 exec, exec, s[2:3]
	s_waitcnt lgkmcnt(0)
	s_barrier
	ds_read_b128 v[20:23], v46
	ds_read_b128 v[36:39], v46 offset:4704
	ds_read_b128 v[32:35], v46 offset:9408
	;; [unrolled: 1-line block ×4, first 2 shown]
	s_movk_i32 s2, 0x54
	v_cmp_gt_u32_e32 vcc, s2, v44
                                        ; implicit-def: $vgpr18_vgpr19
	s_and_saveexec_b64 s[2:3], vcc
	s_cbranch_execz .LBB0_29
; %bb.28:
	ds_read_b128 v[0:3], v46 offset:3360
	ds_read_b128 v[4:7], v46 offset:8064
	;; [unrolled: 1-line block ×5, first 2 shown]
.LBB0_29:
	s_or_b64 exec, exec, s[2:3]
	s_movk_i32 s2, 0xab
	v_mul_lo_u16_sdwa v47, v44, s2 dst_sel:DWORD dst_unused:UNUSED_PAD src0_sel:BYTE_0 src1_sel:DWORD
	v_lshrrev_b16_e32 v71, 10, v47
	v_mul_lo_u16_e32 v47, 6, v71
	v_sub_u16_e32 v72, v44, v47
	v_mov_b32_e32 v48, 6
	v_lshlrev_b32_sdwa v47, v48, v72 dst_sel:DWORD dst_unused:UNUSED_PAD src0_sel:DWORD src1_sel:BYTE_0
	global_load_dwordx4 v[49:52], v47, s[12:13] offset:64
	global_load_dwordx4 v[53:56], v47, s[12:13] offset:80
	global_load_dwordx4 v[57:60], v47, s[12:13] offset:96
	global_load_dwordx4 v[61:64], v47, s[12:13] offset:112
	v_mov_b32_e32 v47, 4
	v_mul_u32_u24_e32 v75, 0x1e0, v71
	v_lshlrev_b32_sdwa v76, v47, v72 dst_sel:DWORD dst_unused:UNUSED_PAD src0_sel:DWORD src1_sel:BYTE_0
	s_mov_b32 s2, 0x134454ff
	s_mov_b32 s3, 0xbfee6f0e
	;; [unrolled: 1-line block ×10, first 2 shown]
	s_waitcnt vmcnt(0) lgkmcnt(0)
	s_barrier
	v_mul_f64 v[65:66], v[38:39], v[51:52]
	v_mul_f64 v[51:52], v[36:37], v[51:52]
	v_mul_f64 v[67:68], v[34:35], v[55:56]
	v_mul_f64 v[69:70], v[30:31], v[59:60]
	v_mul_f64 v[55:56], v[32:33], v[55:56]
	v_fma_f64 v[36:37], v[36:37], v[49:50], v[65:66]
	v_fma_f64 v[38:39], v[38:39], v[49:50], -v[51:52]
	v_mul_f64 v[51:52], v[28:29], v[59:60]
	v_mul_f64 v[59:60], v[26:27], v[63:64]
	;; [unrolled: 1-line block ×3, first 2 shown]
	v_fma_f64 v[32:33], v[32:33], v[53:54], v[67:68]
	v_fma_f64 v[28:29], v[28:29], v[57:58], v[69:70]
	v_fma_f64 v[34:35], v[34:35], v[53:54], -v[55:56]
	v_add_f64 v[67:68], v[22:23], v[38:39]
	v_fma_f64 v[30:31], v[30:31], v[57:58], -v[51:52]
	v_fma_f64 v[24:25], v[24:25], v[61:62], v[59:60]
	v_fma_f64 v[26:27], v[26:27], v[61:62], -v[49:50]
	v_add_f64 v[57:58], v[36:37], -v[32:33]
	v_add_f64 v[49:50], v[20:21], v[36:37]
	v_add_f64 v[51:52], v[32:33], v[28:29]
	v_add_f64 v[63:64], v[32:33], -v[36:37]
	v_add_f64 v[71:72], v[38:39], -v[34:35]
	v_add_f64 v[69:70], v[34:35], v[30:31]
	v_add_f64 v[59:60], v[24:25], -v[28:29]
	v_add_f64 v[61:62], v[36:37], v[24:25]
	v_add_f64 v[65:66], v[28:29], -v[24:25]
	v_add_f64 v[53:54], v[38:39], -v[26:27]
	;; [unrolled: 1-line block ×4, first 2 shown]
	v_add_f64 v[49:50], v[49:50], v[32:33]
	v_fma_f64 v[51:52], v[51:52], -0.5, v[20:21]
	v_add_f64 v[57:58], v[57:58], v[59:60]
	v_add_f64 v[59:60], v[38:39], v[26:27]
	v_add_f64 v[38:39], v[34:35], -v[38:39]
	v_fma_f64 v[20:21], v[61:62], -0.5, v[20:21]
	v_add_f64 v[34:35], v[67:68], v[34:35]
	v_fma_f64 v[61:62], v[69:70], -0.5, v[22:23]
	v_add_f64 v[32:33], v[32:33], -v[28:29]
	v_add_f64 v[73:74], v[26:27], -v[30:31]
	v_add_f64 v[63:64], v[63:64], v[65:66]
	v_fma_f64 v[22:23], v[59:60], -0.5, v[22:23]
	v_add_f64 v[65:66], v[30:31], -v[26:27]
	v_add_f64 v[28:29], v[49:50], v[28:29]
	v_fma_f64 v[49:50], v[53:54], s[2:3], v[51:52]
	v_add_f64 v[30:31], v[34:35], v[30:31]
	v_fma_f64 v[34:35], v[36:37], s[16:17], v[61:62]
	v_fma_f64 v[59:60], v[55:56], s[16:17], v[20:21]
	v_add_f64 v[67:68], v[71:72], v[73:74]
	v_fma_f64 v[69:70], v[32:33], s[2:3], v[22:23]
	v_add_f64 v[38:39], v[38:39], v[65:66]
	v_fma_f64 v[51:52], v[53:54], s[16:17], v[51:52]
	v_fma_f64 v[65:66], v[55:56], s[2:3], v[20:21]
	;; [unrolled: 1-line block ×4, first 2 shown]
	v_add_f64 v[20:21], v[28:29], v[24:25]
	v_fma_f64 v[24:25], v[55:56], s[6:7], v[49:50]
	v_add_f64 v[22:23], v[30:31], v[26:27]
	v_fma_f64 v[26:27], v[32:33], s[14:15], v[34:35]
	v_fma_f64 v[49:50], v[53:54], s[6:7], v[59:60]
	v_fma_f64 v[30:31], v[36:37], s[14:15], v[69:70]
	v_fma_f64 v[28:29], v[55:56], s[14:15], v[51:52]
	v_fma_f64 v[51:52], v[53:54], s[14:15], v[65:66]
	v_fma_f64 v[53:54], v[36:37], s[6:7], v[71:72]
	v_fma_f64 v[55:56], v[32:33], s[6:7], v[61:62]
	v_fma_f64 v[24:25], v[57:58], s[8:9], v[24:25]
	v_fma_f64 v[26:27], v[67:68], s[8:9], v[26:27]
	v_fma_f64 v[32:33], v[63:64], s[8:9], v[49:50]
	v_fma_f64 v[34:35], v[38:39], s[8:9], v[30:31]
	v_fma_f64 v[28:29], v[57:58], s[8:9], v[28:29]
	v_fma_f64 v[36:37], v[63:64], s[8:9], v[51:52]
	v_fma_f64 v[38:39], v[38:39], s[8:9], v[53:54]
	v_fma_f64 v[30:31], v[67:68], s[8:9], v[55:56]
	v_add3_u32 v49, 0, v75, v76
	ds_write_b128 v49, v[20:23]
	ds_write_b128 v49, v[24:27] offset:96
	ds_write_b128 v49, v[32:35] offset:192
	;; [unrolled: 1-line block ×4, first 2 shown]
	s_and_saveexec_b64 s[18:19], vcc
	s_cbranch_execz .LBB0_31
; %bb.30:
	s_mov_b32 s20, 0xaaab
	v_mul_u32_u24_sdwa v20, v45, s20 dst_sel:DWORD dst_unused:UNUSED_PAD src0_sel:WORD_0 src1_sel:DWORD
	v_lshrrev_b32_e32 v53, 18, v20
	v_mul_lo_u16_e32 v20, 6, v53
	v_sub_u16_e32 v45, v45, v20
	v_lshlrev_b32_e32 v36, 6, v45
	global_load_dwordx4 v[20:23], v36, s[12:13] offset:80
	global_load_dwordx4 v[24:27], v36, s[12:13] offset:64
	;; [unrolled: 1-line block ×4, first 2 shown]
	v_mul_lo_u16_e32 v61, 30, v53
	s_waitcnt vmcnt(3)
	v_mul_f64 v[36:37], v[8:9], v[22:23]
	s_waitcnt vmcnt(2)
	v_mul_f64 v[38:39], v[4:5], v[26:27]
	s_waitcnt vmcnt(1)
	v_mul_f64 v[49:50], v[12:13], v[30:31]
	s_waitcnt vmcnt(0)
	v_mul_f64 v[51:52], v[16:17], v[34:35]
	v_mul_f64 v[22:23], v[10:11], v[22:23]
	v_mul_f64 v[30:31], v[14:15], v[30:31]
	;; [unrolled: 1-line block ×4, first 2 shown]
	v_fma_f64 v[10:11], v[10:11], v[20:21], -v[36:37]
	v_fma_f64 v[6:7], v[6:7], v[24:25], -v[38:39]
	;; [unrolled: 1-line block ×4, first 2 shown]
	v_fma_f64 v[8:9], v[8:9], v[20:21], v[22:23]
	v_fma_f64 v[12:13], v[12:13], v[28:29], v[30:31]
	;; [unrolled: 1-line block ×4, first 2 shown]
	v_add_f64 v[20:21], v[10:11], -v[6:7]
	v_add_f64 v[30:31], v[6:7], -v[10:11]
	;; [unrolled: 1-line block ×3, first 2 shown]
	v_add_f64 v[26:27], v[6:7], v[18:19]
	v_add_f64 v[32:33], v[18:19], -v[14:15]
	v_add_f64 v[34:35], v[10:11], v[14:15]
	v_add_f64 v[51:52], v[4:5], v[16:17]
	;; [unrolled: 1-line block ×4, first 2 shown]
	v_add_f64 v[28:29], v[4:5], -v[16:17]
	v_add_f64 v[38:39], v[8:9], -v[4:5]
	;; [unrolled: 1-line block ×3, first 2 shown]
	v_add_f64 v[4:5], v[0:1], v[4:5]
	v_add_f64 v[24:25], v[8:9], -v[12:13]
	v_add_f64 v[49:50], v[12:13], -v[16:17]
	;; [unrolled: 1-line block ×3, first 2 shown]
	v_add_f64 v[20:21], v[20:21], v[22:23]
	v_fma_f64 v[22:23], v[26:27], -0.5, v[2:3]
	v_add_f64 v[26:27], v[30:31], v[32:33]
	v_fma_f64 v[2:3], v[34:35], -0.5, v[2:3]
	v_fma_f64 v[32:33], v[51:52], -0.5, v[0:1]
	;; [unrolled: 1-line block ×3, first 2 shown]
	v_add_f64 v[53:54], v[10:11], -v[14:15]
	v_add_f64 v[10:11], v[36:37], v[10:11]
	v_add_f64 v[4:5], v[4:5], v[8:9]
	v_add_f64 v[57:58], v[16:17], -v[12:13]
	v_add_f64 v[30:31], v[38:39], v[49:50]
	v_fma_f64 v[8:9], v[24:25], s[16:17], v[22:23]
	v_fma_f64 v[22:23], v[24:25], s[2:3], v[22:23]
	;; [unrolled: 1-line block ×6, first 2 shown]
	v_add_f64 v[10:11], v[10:11], v[14:15]
	v_fma_f64 v[14:15], v[53:54], s[2:3], v[32:33]
	v_fma_f64 v[32:33], v[53:54], s[16:17], v[32:33]
	v_add_f64 v[4:5], v[4:5], v[12:13]
	v_add_f64 v[34:35], v[55:56], v[57:58]
	v_fma_f64 v[12:13], v[28:29], s[14:15], v[22:23]
	v_fma_f64 v[22:23], v[24:25], s[6:7], v[36:37]
	;; [unrolled: 1-line block ×8, first 2 shown]
	v_add_f64 v[2:3], v[10:11], v[18:19]
	v_add_f64 v[0:1], v[4:5], v[16:17]
	v_fma_f64 v[18:19], v[26:27], s[8:9], v[24:25]
	v_fma_f64 v[16:17], v[34:35], s[8:9], v[36:37]
	;; [unrolled: 1-line block ×8, first 2 shown]
	v_lshlrev_b32_e32 v20, 4, v61
	v_lshlrev_b32_e32 v21, 4, v45
	v_add3_u32 v20, 0, v21, v20
	ds_write_b128 v20, v[0:3]
	ds_write_b128 v20, v[16:19] offset:96
	ds_write_b128 v20, v[8:11] offset:192
	;; [unrolled: 1-line block ×4, first 2 shown]
.LBB0_31:
	s_or_b64 exec, exec, s[18:19]
	s_movk_i32 s2, 0x89
	v_mul_lo_u16_sdwa v0, v44, s2 dst_sel:DWORD dst_unused:UNUSED_PAD src0_sel:BYTE_0 src1_sel:DWORD
	v_lshrrev_b16_e32 v45, 12, v0
	v_mul_lo_u16_e32 v0, 30, v45
	v_sub_u16_e32 v60, v44, v0
	v_mul_u32_u24_sdwa v0, v60, v48 dst_sel:DWORD dst_unused:UNUSED_PAD src0_sel:BYTE_0 src1_sel:DWORD
	v_lshlrev_b32_e32 v24, 4, v0
	s_waitcnt lgkmcnt(0)
	s_barrier
	global_load_dwordx4 v[0:3], v24, s[12:13] offset:448
	global_load_dwordx4 v[4:7], v24, s[12:13] offset:464
	;; [unrolled: 1-line block ×6, first 2 shown]
	ds_read_b128 v[24:27], v46
	ds_read_b128 v[28:31], v46 offset:3360
	ds_read_b128 v[32:35], v46 offset:6720
	;; [unrolled: 1-line block ×6, first 2 shown]
	v_lshlrev_b32_sdwa v47, v47, v60 dst_sel:DWORD dst_unused:UNUSED_PAD src0_sel:DWORD src1_sel:BYTE_0
	v_mul_u32_u24_e32 v45, 0xd20, v45
	v_add3_u32 v45, 0, v45, v47
	s_mov_b32 s6, 0x37e14327
	s_mov_b32 s2, 0x36b3c0b5
	;; [unrolled: 1-line block ×20, first 2 shown]
	s_waitcnt vmcnt(0) lgkmcnt(0)
	s_barrier
	v_mul_f64 v[60:61], v[30:31], v[2:3]
	v_mul_f64 v[2:3], v[28:29], v[2:3]
	v_mul_f64 v[62:63], v[34:35], v[6:7]
	v_mul_f64 v[6:7], v[32:33], v[6:7]
	v_mul_f64 v[64:65], v[38:39], v[10:11]
	v_mul_f64 v[10:11], v[36:37], v[10:11]
	v_mul_f64 v[68:69], v[58:59], v[18:19]
	v_mul_f64 v[18:19], v[56:57], v[18:19]
	v_mul_f64 v[70:71], v[54:55], v[22:23]
	v_mul_f64 v[22:23], v[52:53], v[22:23]
	v_mul_f64 v[66:67], v[50:51], v[14:15]
	v_mul_f64 v[14:15], v[48:49], v[14:15]
	v_fma_f64 v[28:29], v[28:29], v[0:1], v[60:61]
	v_fma_f64 v[0:1], v[30:31], v[0:1], -v[2:3]
	v_fma_f64 v[2:3], v[32:33], v[4:5], v[62:63]
	v_fma_f64 v[4:5], v[34:35], v[4:5], -v[6:7]
	;; [unrolled: 2-line block ×6, first 2 shown]
	v_add_f64 v[14:15], v[28:29], v[6:7]
	v_add_f64 v[30:31], v[0:1], v[16:17]
	v_add_f64 v[6:7], v[28:29], -v[6:7]
	v_add_f64 v[0:1], v[0:1], -v[16:17]
	v_add_f64 v[16:17], v[2:3], v[10:11]
	v_add_f64 v[28:29], v[4:5], v[20:21]
	v_add_f64 v[2:3], v[2:3], -v[10:11]
	v_add_f64 v[4:5], v[4:5], -v[20:21]
	;; [unrolled: 4-line block ×4, first 2 shown]
	v_add_f64 v[14:15], v[14:15], -v[10:11]
	v_add_f64 v[30:31], v[30:31], -v[20:21]
	;; [unrolled: 1-line block ×3, first 2 shown]
	v_add_f64 v[38:39], v[8:9], v[4:5]
	v_add_f64 v[47:48], v[18:19], -v[2:3]
	v_add_f64 v[49:50], v[8:9], -v[4:5]
	v_add_f64 v[10:11], v[10:11], v[12:13]
	v_add_f64 v[12:13], v[20:21], v[22:23]
	v_add_f64 v[51:52], v[2:3], -v[6:7]
	v_add_f64 v[4:5], v[4:5], -v[0:1]
	;; [unrolled: 1-line block ×3, first 2 shown]
	v_add_f64 v[36:37], v[18:19], v[2:3]
	v_add_f64 v[18:19], v[6:7], -v[18:19]
	v_add_f64 v[8:9], v[0:1], -v[8:9]
	v_add_f64 v[20:21], v[38:39], v[0:1]
	v_mul_f64 v[14:15], v[14:15], s[6:7]
	v_mul_f64 v[22:23], v[30:31], s[6:7]
	;; [unrolled: 1-line block ×5, first 2 shown]
	v_add_f64 v[0:1], v[24:25], v[10:11]
	v_add_f64 v[2:3], v[26:27], v[12:13]
	v_mul_f64 v[49:50], v[51:52], s[8:9]
	v_mul_f64 v[53:54], v[4:5], s[8:9]
	v_add_f64 v[6:7], v[36:37], v[6:7]
	v_mul_f64 v[36:37], v[28:29], s[2:3]
	v_fma_f64 v[16:17], v[16:17], s[2:3], v[14:15]
	v_fma_f64 v[24:25], v[28:29], s[2:3], v[22:23]
	v_fma_f64 v[26:27], v[32:33], s[18:19], -v[30:31]
	v_fma_f64 v[14:15], v[32:33], s[20:21], -v[14:15]
	v_fma_f64 v[30:31], v[18:19], s[22:23], v[38:39]
	v_fma_f64 v[32:33], v[8:9], s[22:23], v[47:48]
	;; [unrolled: 1-line block ×4, first 2 shown]
	v_fma_f64 v[22:23], v[34:35], s[20:21], -v[22:23]
	v_fma_f64 v[4:5], v[4:5], s[8:9], -v[47:48]
	;; [unrolled: 1-line block ×6, first 2 shown]
	v_fma_f64 v[30:31], v[6:7], s[24:25], v[30:31]
	v_fma_f64 v[32:33], v[20:21], s[24:25], v[32:33]
	v_add_f64 v[47:48], v[16:17], v[10:11]
	v_add_f64 v[49:50], v[24:25], v[12:13]
	v_fma_f64 v[36:37], v[20:21], s[24:25], v[4:5]
	v_fma_f64 v[38:39], v[6:7], s[24:25], v[18:19]
	;; [unrolled: 1-line block ×3, first 2 shown]
	v_add_f64 v[24:25], v[14:15], v[10:11]
	v_add_f64 v[22:23], v[22:23], v[12:13]
	v_fma_f64 v[34:35], v[6:7], s[24:25], v[34:35]
	v_add_f64 v[16:17], v[26:27], v[10:11]
	v_add_f64 v[18:19], v[28:29], v[12:13]
	;; [unrolled: 1-line block ×3, first 2 shown]
	v_add_f64 v[6:7], v[49:50], -v[30:31]
	v_add_f64 v[26:27], v[30:31], v[49:50]
	v_add_f64 v[8:9], v[20:21], v[24:25]
	v_add_f64 v[10:11], v[22:23], -v[38:39]
	v_add_f64 v[20:21], v[24:25], -v[20:21]
	;; [unrolled: 1-line block ×3, first 2 shown]
	v_add_f64 v[14:15], v[34:35], v[18:19]
	v_add_f64 v[16:17], v[36:37], v[16:17]
	v_add_f64 v[18:19], v[18:19], -v[34:35]
	v_add_f64 v[22:23], v[38:39], v[22:23]
	v_add_f64 v[24:25], v[47:48], -v[32:33]
	ds_write_b128 v45, v[0:3]
	ds_write_b128 v45, v[4:7] offset:480
	ds_write_b128 v45, v[8:11] offset:960
	;; [unrolled: 1-line block ×6, first 2 shown]
	v_mul_u32_u24_e32 v0, 6, v44
	v_lshlrev_b32_e32 v24, 4, v0
	s_waitcnt lgkmcnt(0)
	s_barrier
	global_load_dwordx4 v[0:3], v24, s[12:13] offset:3328
	global_load_dwordx4 v[4:7], v24, s[12:13] offset:3344
	global_load_dwordx4 v[8:11], v24, s[12:13] offset:3360
	global_load_dwordx4 v[12:15], v24, s[12:13] offset:3376
	global_load_dwordx4 v[16:19], v24, s[12:13] offset:3408
	global_load_dwordx4 v[20:23], v24, s[12:13] offset:3392
	ds_read_b128 v[24:27], v46
	ds_read_b128 v[28:31], v46 offset:3360
	ds_read_b128 v[32:35], v46 offset:6720
	;; [unrolled: 1-line block ×6, first 2 shown]
	s_waitcnt vmcnt(0) lgkmcnt(0)
	s_barrier
	v_mul_f64 v[59:60], v[30:31], v[2:3]
	v_mul_f64 v[2:3], v[28:29], v[2:3]
	;; [unrolled: 1-line block ×12, first 2 shown]
	v_fma_f64 v[28:29], v[28:29], v[0:1], v[59:60]
	v_fma_f64 v[0:1], v[30:31], v[0:1], -v[2:3]
	v_fma_f64 v[2:3], v[32:33], v[4:5], v[61:62]
	v_fma_f64 v[4:5], v[34:35], v[4:5], -v[6:7]
	;; [unrolled: 2-line block ×6, first 2 shown]
	v_add_f64 v[14:15], v[28:29], v[6:7]
	v_add_f64 v[30:31], v[0:1], v[16:17]
	v_add_f64 v[6:7], v[28:29], -v[6:7]
	v_add_f64 v[0:1], v[0:1], -v[16:17]
	v_add_f64 v[16:17], v[2:3], v[10:11]
	v_add_f64 v[28:29], v[4:5], v[20:21]
	v_add_f64 v[2:3], v[2:3], -v[10:11]
	v_add_f64 v[4:5], v[4:5], -v[20:21]
	;; [unrolled: 4-line block ×4, first 2 shown]
	v_add_f64 v[14:15], v[14:15], -v[10:11]
	v_add_f64 v[30:31], v[30:31], -v[20:21]
	;; [unrolled: 1-line block ×3, first 2 shown]
	v_add_f64 v[38:39], v[8:9], v[4:5]
	v_add_f64 v[47:48], v[18:19], -v[2:3]
	v_add_f64 v[49:50], v[8:9], -v[4:5]
	v_add_f64 v[10:11], v[10:11], v[12:13]
	v_add_f64 v[12:13], v[20:21], v[22:23]
	v_add_f64 v[51:52], v[2:3], -v[6:7]
	v_add_f64 v[4:5], v[4:5], -v[0:1]
	;; [unrolled: 1-line block ×3, first 2 shown]
	v_add_f64 v[36:37], v[18:19], v[2:3]
	v_add_f64 v[18:19], v[6:7], -v[18:19]
	v_add_f64 v[8:9], v[0:1], -v[8:9]
	v_add_f64 v[20:21], v[38:39], v[0:1]
	v_mul_f64 v[14:15], v[14:15], s[6:7]
	v_mul_f64 v[22:23], v[30:31], s[6:7]
	;; [unrolled: 1-line block ×5, first 2 shown]
	v_add_f64 v[0:1], v[24:25], v[10:11]
	v_add_f64 v[2:3], v[26:27], v[12:13]
	v_mul_f64 v[49:50], v[51:52], s[8:9]
	v_mul_f64 v[53:54], v[4:5], s[8:9]
	v_add_f64 v[6:7], v[36:37], v[6:7]
	v_mul_f64 v[36:37], v[28:29], s[2:3]
	v_fma_f64 v[16:17], v[16:17], s[2:3], v[14:15]
	v_fma_f64 v[24:25], v[28:29], s[2:3], v[22:23]
	v_fma_f64 v[26:27], v[32:33], s[18:19], -v[30:31]
	v_fma_f64 v[14:15], v[32:33], s[20:21], -v[14:15]
	v_fma_f64 v[30:31], v[18:19], s[22:23], v[38:39]
	v_fma_f64 v[32:33], v[8:9], s[22:23], v[47:48]
	;; [unrolled: 1-line block ×4, first 2 shown]
	v_fma_f64 v[22:23], v[34:35], s[20:21], -v[22:23]
	v_fma_f64 v[4:5], v[4:5], s[8:9], -v[47:48]
	;; [unrolled: 1-line block ×6, first 2 shown]
	v_fma_f64 v[30:31], v[6:7], s[24:25], v[30:31]
	v_fma_f64 v[32:33], v[20:21], s[24:25], v[32:33]
	v_add_f64 v[47:48], v[16:17], v[10:11]
	v_add_f64 v[49:50], v[24:25], v[12:13]
	v_fma_f64 v[36:37], v[20:21], s[24:25], v[4:5]
	v_fma_f64 v[38:39], v[6:7], s[24:25], v[18:19]
	;; [unrolled: 1-line block ×3, first 2 shown]
	v_add_f64 v[24:25], v[14:15], v[10:11]
	v_add_f64 v[22:23], v[22:23], v[12:13]
	v_fma_f64 v[34:35], v[6:7], s[24:25], v[34:35]
	v_add_f64 v[16:17], v[26:27], v[10:11]
	v_add_f64 v[18:19], v[28:29], v[12:13]
	;; [unrolled: 1-line block ×3, first 2 shown]
	v_add_f64 v[6:7], v[49:50], -v[30:31]
	v_add_f64 v[26:27], v[30:31], v[49:50]
	v_add_f64 v[8:9], v[20:21], v[24:25]
	v_add_f64 v[10:11], v[22:23], -v[38:39]
	v_add_f64 v[20:21], v[24:25], -v[20:21]
	v_add_f64 v[12:13], v[16:17], -v[36:37]
	v_add_f64 v[14:15], v[34:35], v[18:19]
	v_add_f64 v[16:17], v[36:37], v[16:17]
	v_add_f64 v[18:19], v[18:19], -v[34:35]
	v_add_f64 v[22:23], v[38:39], v[22:23]
	v_add_f64 v[24:25], v[47:48], -v[32:33]
	ds_write_b128 v46, v[0:3]
	ds_write_b128 v46, v[4:7] offset:3360
	ds_write_b128 v46, v[8:11] offset:6720
	;; [unrolled: 1-line block ×6, first 2 shown]
	s_waitcnt lgkmcnt(0)
	s_barrier
	s_and_saveexec_b64 s[2:3], s[0:1]
	s_cbranch_execz .LBB0_33
; %bb.32:
	v_mul_lo_u32 v0, s5, v42
	v_mul_lo_u32 v1, s4, v43
	v_mad_u64_u32 v[4:5], s[0:1], s4, v42, 0
	v_mov_b32_e32 v6, s11
	v_lshl_add_u32 v10, v44, 4, 0
	v_add3_u32 v5, v5, v1, v0
	v_lshlrev_b64 v[4:5], 4, v[4:5]
	v_mov_b32_e32 v45, 0
	v_add_co_u32_e32 v7, vcc, s10, v4
	v_addc_co_u32_e32 v6, vcc, v6, v5, vcc
	v_lshlrev_b64 v[4:5], 4, v[40:41]
	ds_read_b128 v[0:3], v10
	v_add_co_u32_e32 v11, vcc, v7, v4
	v_addc_co_u32_e32 v12, vcc, v6, v5, vcc
	v_lshlrev_b64 v[4:5], 4, v[44:45]
	v_add_co_u32_e32 v8, vcc, v11, v4
	v_addc_co_u32_e32 v9, vcc, v12, v5, vcc
	ds_read_b128 v[4:7], v10 offset:3360
	s_waitcnt lgkmcnt(1)
	global_store_dwordx4 v[8:9], v[0:3], off
	s_nop 0
	v_add_u32_e32 v0, 0xd2, v44
	v_mov_b32_e32 v1, v45
	v_lshlrev_b64 v[0:1], 4, v[0:1]
	v_add_co_u32_e32 v0, vcc, v11, v0
	v_addc_co_u32_e32 v1, vcc, v12, v1, vcc
	s_waitcnt lgkmcnt(0)
	global_store_dwordx4 v[0:1], v[4:7], off
	ds_read_b128 v[0:3], v10 offset:6720
	v_add_u32_e32 v4, 0x1a4, v44
	v_mov_b32_e32 v5, v45
	v_lshlrev_b64 v[4:5], 4, v[4:5]
	v_add_co_u32_e32 v8, vcc, v11, v4
	v_addc_co_u32_e32 v9, vcc, v12, v5, vcc
	ds_read_b128 v[4:7], v10 offset:10080
	s_waitcnt lgkmcnt(1)
	global_store_dwordx4 v[8:9], v[0:3], off
	s_nop 0
	v_add_u32_e32 v0, 0x276, v44
	v_mov_b32_e32 v1, v45
	v_lshlrev_b64 v[0:1], 4, v[0:1]
	v_add_co_u32_e32 v0, vcc, v11, v0
	v_addc_co_u32_e32 v1, vcc, v12, v1, vcc
	s_waitcnt lgkmcnt(0)
	global_store_dwordx4 v[0:1], v[4:7], off
	ds_read_b128 v[0:3], v10 offset:13440
	v_add_u32_e32 v4, 0x348, v44
	v_mov_b32_e32 v5, v45
	v_lshlrev_b64 v[4:5], 4, v[4:5]
	v_add_co_u32_e32 v8, vcc, v11, v4
	v_addc_co_u32_e32 v9, vcc, v12, v5, vcc
	ds_read_b128 v[4:7], v10 offset:16800
	s_waitcnt lgkmcnt(1)
	global_store_dwordx4 v[8:9], v[0:3], off
	s_nop 0
	v_add_u32_e32 v0, 0x41a, v44
	v_mov_b32_e32 v1, v45
	v_lshlrev_b64 v[0:1], 4, v[0:1]
	v_add_u32_e32 v44, 0x4ec, v44
	v_add_co_u32_e32 v0, vcc, v11, v0
	v_addc_co_u32_e32 v1, vcc, v12, v1, vcc
	s_waitcnt lgkmcnt(0)
	global_store_dwordx4 v[0:1], v[4:7], off
	ds_read_b128 v[0:3], v10 offset:20160
	v_lshlrev_b64 v[4:5], 4, v[44:45]
	v_add_co_u32_e32 v4, vcc, v11, v4
	v_addc_co_u32_e32 v5, vcc, v12, v5, vcc
	s_waitcnt lgkmcnt(0)
	global_store_dwordx4 v[4:5], v[0:3], off
.LBB0_33:
	s_endpgm
	.section	.rodata,"a",@progbits
	.p2align	6, 0x0
	.amdhsa_kernel fft_rtc_back_len1470_factors_2_3_5_7_7_wgs_210_tpt_210_halfLds_dp_op_CI_CI_unitstride_sbrr_C2R_dirReg
		.amdhsa_group_segment_fixed_size 0
		.amdhsa_private_segment_fixed_size 0
		.amdhsa_kernarg_size 104
		.amdhsa_user_sgpr_count 6
		.amdhsa_user_sgpr_private_segment_buffer 1
		.amdhsa_user_sgpr_dispatch_ptr 0
		.amdhsa_user_sgpr_queue_ptr 0
		.amdhsa_user_sgpr_kernarg_segment_ptr 1
		.amdhsa_user_sgpr_dispatch_id 0
		.amdhsa_user_sgpr_flat_scratch_init 0
		.amdhsa_user_sgpr_private_segment_size 0
		.amdhsa_uses_dynamic_stack 0
		.amdhsa_system_sgpr_private_segment_wavefront_offset 0
		.amdhsa_system_sgpr_workgroup_id_x 1
		.amdhsa_system_sgpr_workgroup_id_y 0
		.amdhsa_system_sgpr_workgroup_id_z 0
		.amdhsa_system_sgpr_workgroup_info 0
		.amdhsa_system_vgpr_workitem_id 0
		.amdhsa_next_free_vgpr 77
		.amdhsa_next_free_sgpr 28
		.amdhsa_reserve_vcc 1
		.amdhsa_reserve_flat_scratch 0
		.amdhsa_float_round_mode_32 0
		.amdhsa_float_round_mode_16_64 0
		.amdhsa_float_denorm_mode_32 3
		.amdhsa_float_denorm_mode_16_64 3
		.amdhsa_dx10_clamp 1
		.amdhsa_ieee_mode 1
		.amdhsa_fp16_overflow 0
		.amdhsa_exception_fp_ieee_invalid_op 0
		.amdhsa_exception_fp_denorm_src 0
		.amdhsa_exception_fp_ieee_div_zero 0
		.amdhsa_exception_fp_ieee_overflow 0
		.amdhsa_exception_fp_ieee_underflow 0
		.amdhsa_exception_fp_ieee_inexact 0
		.amdhsa_exception_int_div_zero 0
	.end_amdhsa_kernel
	.text
.Lfunc_end0:
	.size	fft_rtc_back_len1470_factors_2_3_5_7_7_wgs_210_tpt_210_halfLds_dp_op_CI_CI_unitstride_sbrr_C2R_dirReg, .Lfunc_end0-fft_rtc_back_len1470_factors_2_3_5_7_7_wgs_210_tpt_210_halfLds_dp_op_CI_CI_unitstride_sbrr_C2R_dirReg
                                        ; -- End function
	.section	.AMDGPU.csdata,"",@progbits
; Kernel info:
; codeLenInByte = 7860
; NumSgprs: 32
; NumVgprs: 77
; ScratchSize: 0
; MemoryBound: 0
; FloatMode: 240
; IeeeMode: 1
; LDSByteSize: 0 bytes/workgroup (compile time only)
; SGPRBlocks: 3
; VGPRBlocks: 19
; NumSGPRsForWavesPerEU: 32
; NumVGPRsForWavesPerEU: 77
; Occupancy: 3
; WaveLimiterHint : 1
; COMPUTE_PGM_RSRC2:SCRATCH_EN: 0
; COMPUTE_PGM_RSRC2:USER_SGPR: 6
; COMPUTE_PGM_RSRC2:TRAP_HANDLER: 0
; COMPUTE_PGM_RSRC2:TGID_X_EN: 1
; COMPUTE_PGM_RSRC2:TGID_Y_EN: 0
; COMPUTE_PGM_RSRC2:TGID_Z_EN: 0
; COMPUTE_PGM_RSRC2:TIDIG_COMP_CNT: 0
	.type	__hip_cuid_10572b6978ccf084,@object ; @__hip_cuid_10572b6978ccf084
	.section	.bss,"aw",@nobits
	.globl	__hip_cuid_10572b6978ccf084
__hip_cuid_10572b6978ccf084:
	.byte	0                               ; 0x0
	.size	__hip_cuid_10572b6978ccf084, 1

	.ident	"AMD clang version 19.0.0git (https://github.com/RadeonOpenCompute/llvm-project roc-6.4.0 25133 c7fe45cf4b819c5991fe208aaa96edf142730f1d)"
	.section	".note.GNU-stack","",@progbits
	.addrsig
	.addrsig_sym __hip_cuid_10572b6978ccf084
	.amdgpu_metadata
---
amdhsa.kernels:
  - .args:
      - .actual_access:  read_only
        .address_space:  global
        .offset:         0
        .size:           8
        .value_kind:     global_buffer
      - .offset:         8
        .size:           8
        .value_kind:     by_value
      - .actual_access:  read_only
        .address_space:  global
        .offset:         16
        .size:           8
        .value_kind:     global_buffer
      - .actual_access:  read_only
        .address_space:  global
        .offset:         24
        .size:           8
        .value_kind:     global_buffer
      - .actual_access:  read_only
        .address_space:  global
        .offset:         32
        .size:           8
        .value_kind:     global_buffer
      - .offset:         40
        .size:           8
        .value_kind:     by_value
      - .actual_access:  read_only
        .address_space:  global
        .offset:         48
        .size:           8
        .value_kind:     global_buffer
      - .actual_access:  read_only
        .address_space:  global
        .offset:         56
        .size:           8
        .value_kind:     global_buffer
      - .offset:         64
        .size:           4
        .value_kind:     by_value
      - .actual_access:  read_only
        .address_space:  global
        .offset:         72
        .size:           8
        .value_kind:     global_buffer
      - .actual_access:  read_only
        .address_space:  global
        .offset:         80
        .size:           8
        .value_kind:     global_buffer
      - .actual_access:  read_only
        .address_space:  global
        .offset:         88
        .size:           8
        .value_kind:     global_buffer
      - .actual_access:  write_only
        .address_space:  global
        .offset:         96
        .size:           8
        .value_kind:     global_buffer
    .group_segment_fixed_size: 0
    .kernarg_segment_align: 8
    .kernarg_segment_size: 104
    .language:       OpenCL C
    .language_version:
      - 2
      - 0
    .max_flat_workgroup_size: 210
    .name:           fft_rtc_back_len1470_factors_2_3_5_7_7_wgs_210_tpt_210_halfLds_dp_op_CI_CI_unitstride_sbrr_C2R_dirReg
    .private_segment_fixed_size: 0
    .sgpr_count:     32
    .sgpr_spill_count: 0
    .symbol:         fft_rtc_back_len1470_factors_2_3_5_7_7_wgs_210_tpt_210_halfLds_dp_op_CI_CI_unitstride_sbrr_C2R_dirReg.kd
    .uniform_work_group_size: 1
    .uses_dynamic_stack: false
    .vgpr_count:     77
    .vgpr_spill_count: 0
    .wavefront_size: 64
amdhsa.target:   amdgcn-amd-amdhsa--gfx906
amdhsa.version:
  - 1
  - 2
...

	.end_amdgpu_metadata
